;; amdgpu-corpus repo=ROCm/rocFFT kind=compiled arch=gfx950 opt=O3
	.text
	.amdgcn_target "amdgcn-amd-amdhsa--gfx950"
	.amdhsa_code_object_version 6
	.protected	fft_rtc_back_len704_factors_2_2_2_2_11_2_2_wgs_176_tpt_88_halfLds_sp_ip_CI_unitstride_sbrr_dirReg ; -- Begin function fft_rtc_back_len704_factors_2_2_2_2_11_2_2_wgs_176_tpt_88_halfLds_sp_ip_CI_unitstride_sbrr_dirReg
	.globl	fft_rtc_back_len704_factors_2_2_2_2_11_2_2_wgs_176_tpt_88_halfLds_sp_ip_CI_unitstride_sbrr_dirReg
	.p2align	8
	.type	fft_rtc_back_len704_factors_2_2_2_2_11_2_2_wgs_176_tpt_88_halfLds_sp_ip_CI_unitstride_sbrr_dirReg,@function
fft_rtc_back_len704_factors_2_2_2_2_11_2_2_wgs_176_tpt_88_halfLds_sp_ip_CI_unitstride_sbrr_dirReg: ; @fft_rtc_back_len704_factors_2_2_2_2_11_2_2_wgs_176_tpt_88_halfLds_sp_ip_CI_unitstride_sbrr_dirReg
; %bb.0:
	s_load_dwordx2 s[8:9], s[0:1], 0x50
	s_load_dwordx4 s[4:7], s[0:1], 0x0
	s_load_dwordx2 s[10:11], s[0:1], 0x18
	v_mul_u32_u24_e32 v1, 0x2e9, v0
	v_lshrrev_b32_e32 v20, 16, v1
	v_lshl_add_u32 v6, s2, 1, v20
	v_mov_b32_e32 v4, 0
	s_waitcnt lgkmcnt(0)
	v_cmp_lt_u64_e64 s[2:3], s[6:7], 2
	v_mov_b32_e32 v7, v4
	s_and_b64 vcc, exec, s[2:3]
	v_mov_b64_e32 v[2:3], 0
	s_cbranch_vccnz .LBB0_8
; %bb.1:
	s_load_dwordx2 s[2:3], s[0:1], 0x10
	s_add_u32 s12, s10, 8
	s_addc_u32 s13, s11, 0
	s_mov_b64 s[14:15], 1
	v_mov_b64_e32 v[2:3], 0
	s_waitcnt lgkmcnt(0)
	s_add_u32 s16, s2, 8
	s_addc_u32 s17, s3, 0
.LBB0_2:                                ; =>This Inner Loop Header: Depth=1
	s_load_dwordx2 s[18:19], s[16:17], 0x0
                                        ; implicit-def: $vgpr8_vgpr9
	s_waitcnt lgkmcnt(0)
	v_or_b32_e32 v5, s19, v7
	v_cmp_ne_u64_e32 vcc, 0, v[4:5]
	s_and_saveexec_b64 s[2:3], vcc
	s_xor_b64 s[20:21], exec, s[2:3]
	s_cbranch_execz .LBB0_4
; %bb.3:                                ;   in Loop: Header=BB0_2 Depth=1
	v_cvt_f32_u32_e32 v1, s18
	v_cvt_f32_u32_e32 v5, s19
	s_sub_u32 s2, 0, s18
	s_subb_u32 s3, 0, s19
	v_fmac_f32_e32 v1, 0x4f800000, v5
	v_rcp_f32_e32 v1, v1
	s_nop 0
	v_mul_f32_e32 v1, 0x5f7ffffc, v1
	v_mul_f32_e32 v5, 0x2f800000, v1
	v_trunc_f32_e32 v5, v5
	v_fmac_f32_e32 v1, 0xcf800000, v5
	v_cvt_u32_f32_e32 v5, v5
	v_cvt_u32_f32_e32 v1, v1
	v_mul_lo_u32 v8, s2, v5
	v_mul_hi_u32 v10, s2, v1
	v_mul_lo_u32 v9, s3, v1
	v_add_u32_e32 v10, v10, v8
	v_mul_lo_u32 v12, s2, v1
	v_add_u32_e32 v13, v10, v9
	v_mul_hi_u32 v8, v1, v12
	v_mul_hi_u32 v11, v1, v13
	v_mul_lo_u32 v10, v1, v13
	v_mov_b32_e32 v9, v4
	v_lshl_add_u64 v[8:9], v[8:9], 0, v[10:11]
	v_mul_hi_u32 v11, v5, v12
	v_mul_lo_u32 v12, v5, v12
	v_add_co_u32_e32 v8, vcc, v8, v12
	v_mul_hi_u32 v10, v5, v13
	s_nop 0
	v_addc_co_u32_e32 v8, vcc, v9, v11, vcc
	v_mov_b32_e32 v9, v4
	s_nop 0
	v_addc_co_u32_e32 v11, vcc, 0, v10, vcc
	v_mul_lo_u32 v10, v5, v13
	v_lshl_add_u64 v[8:9], v[8:9], 0, v[10:11]
	v_add_co_u32_e32 v1, vcc, v1, v8
	v_mul_lo_u32 v10, s2, v1
	s_nop 0
	v_addc_co_u32_e32 v5, vcc, v5, v9, vcc
	v_mul_lo_u32 v8, s2, v5
	v_mul_hi_u32 v9, s2, v1
	v_add_u32_e32 v8, v9, v8
	v_mul_lo_u32 v9, s3, v1
	v_add_u32_e32 v12, v8, v9
	v_mul_hi_u32 v14, v5, v10
	v_mul_lo_u32 v15, v5, v10
	v_mul_hi_u32 v9, v1, v12
	v_mul_lo_u32 v8, v1, v12
	v_mul_hi_u32 v10, v1, v10
	v_mov_b32_e32 v11, v4
	v_lshl_add_u64 v[8:9], v[10:11], 0, v[8:9]
	v_add_co_u32_e32 v8, vcc, v8, v15
	v_mul_hi_u32 v13, v5, v12
	s_nop 0
	v_addc_co_u32_e32 v8, vcc, v9, v14, vcc
	v_mul_lo_u32 v10, v5, v12
	s_nop 0
	v_addc_co_u32_e32 v11, vcc, 0, v13, vcc
	v_mov_b32_e32 v9, v4
	v_lshl_add_u64 v[8:9], v[8:9], 0, v[10:11]
	v_add_co_u32_e32 v1, vcc, v1, v8
	v_mul_hi_u32 v10, v6, v1
	s_nop 0
	v_addc_co_u32_e32 v5, vcc, v5, v9, vcc
	v_mad_u64_u32 v[8:9], s[2:3], v6, v5, 0
	v_mov_b32_e32 v11, v4
	v_lshl_add_u64 v[8:9], v[10:11], 0, v[8:9]
	v_mad_u64_u32 v[12:13], s[2:3], v7, v1, 0
	v_add_co_u32_e32 v1, vcc, v8, v12
	v_mad_u64_u32 v[10:11], s[2:3], v7, v5, 0
	s_nop 0
	v_addc_co_u32_e32 v8, vcc, v9, v13, vcc
	v_mov_b32_e32 v9, v4
	s_nop 0
	v_addc_co_u32_e32 v11, vcc, 0, v11, vcc
	v_lshl_add_u64 v[8:9], v[8:9], 0, v[10:11]
	v_mul_lo_u32 v1, s19, v8
	v_mul_lo_u32 v5, s18, v9
	v_mad_u64_u32 v[10:11], s[2:3], s18, v8, 0
	v_add3_u32 v1, v11, v5, v1
	v_sub_u32_e32 v5, v7, v1
	v_mov_b32_e32 v11, s19
	v_sub_co_u32_e32 v14, vcc, v6, v10
	v_lshl_add_u64 v[12:13], v[8:9], 0, 1
	s_nop 0
	v_subb_co_u32_e64 v5, s[2:3], v5, v11, vcc
	v_subrev_co_u32_e64 v10, s[2:3], s18, v14
	v_subb_co_u32_e32 v1, vcc, v7, v1, vcc
	s_nop 0
	v_subbrev_co_u32_e64 v5, s[2:3], 0, v5, s[2:3]
	v_cmp_le_u32_e64 s[2:3], s19, v5
	v_cmp_le_u32_e32 vcc, s19, v1
	s_nop 0
	v_cndmask_b32_e64 v11, 0, -1, s[2:3]
	v_cmp_le_u32_e64 s[2:3], s18, v10
	s_nop 1
	v_cndmask_b32_e64 v10, 0, -1, s[2:3]
	v_cmp_eq_u32_e64 s[2:3], s19, v5
	s_nop 1
	v_cndmask_b32_e64 v5, v11, v10, s[2:3]
	v_lshl_add_u64 v[10:11], v[8:9], 0, 2
	v_cmp_ne_u32_e64 s[2:3], 0, v5
	s_nop 1
	v_cndmask_b32_e64 v5, v13, v11, s[2:3]
	v_cndmask_b32_e64 v11, 0, -1, vcc
	v_cmp_le_u32_e32 vcc, s18, v14
	s_nop 1
	v_cndmask_b32_e64 v13, 0, -1, vcc
	v_cmp_eq_u32_e32 vcc, s19, v1
	s_nop 1
	v_cndmask_b32_e32 v1, v11, v13, vcc
	v_cmp_ne_u32_e32 vcc, 0, v1
	v_cndmask_b32_e64 v1, v12, v10, s[2:3]
	s_nop 0
	v_cndmask_b32_e32 v9, v9, v5, vcc
	v_cndmask_b32_e32 v8, v8, v1, vcc
.LBB0_4:                                ;   in Loop: Header=BB0_2 Depth=1
	s_andn2_saveexec_b64 s[2:3], s[20:21]
	s_cbranch_execz .LBB0_6
; %bb.5:                                ;   in Loop: Header=BB0_2 Depth=1
	v_cvt_f32_u32_e32 v1, s18
	s_sub_i32 s20, 0, s18
	v_rcp_iflag_f32_e32 v1, v1
	s_nop 0
	v_mul_f32_e32 v1, 0x4f7ffffe, v1
	v_cvt_u32_f32_e32 v1, v1
	v_mul_lo_u32 v5, s20, v1
	v_mul_hi_u32 v5, v1, v5
	v_add_u32_e32 v1, v1, v5
	v_mul_hi_u32 v1, v6, v1
	v_mul_lo_u32 v5, v1, s18
	v_sub_u32_e32 v5, v6, v5
	v_add_u32_e32 v8, 1, v1
	v_subrev_u32_e32 v9, s18, v5
	v_cmp_le_u32_e32 vcc, s18, v5
	s_nop 1
	v_cndmask_b32_e32 v5, v5, v9, vcc
	v_cndmask_b32_e32 v1, v1, v8, vcc
	v_add_u32_e32 v8, 1, v1
	v_cmp_le_u32_e32 vcc, s18, v5
	v_mov_b32_e32 v9, v4
	s_nop 0
	v_cndmask_b32_e32 v8, v1, v8, vcc
.LBB0_6:                                ;   in Loop: Header=BB0_2 Depth=1
	s_or_b64 exec, exec, s[2:3]
	v_mad_u64_u32 v[10:11], s[2:3], v8, s18, 0
	s_load_dwordx2 s[2:3], s[12:13], 0x0
	v_mul_lo_u32 v1, v9, s18
	v_mul_lo_u32 v5, v8, s19
	v_add3_u32 v1, v11, v5, v1
	v_sub_co_u32_e32 v5, vcc, v6, v10
	s_add_u32 s14, s14, 1
	s_nop 0
	v_subb_co_u32_e32 v1, vcc, v7, v1, vcc
	s_addc_u32 s15, s15, 0
	s_waitcnt lgkmcnt(0)
	v_mul_lo_u32 v1, s2, v1
	v_mul_lo_u32 v6, s3, v5
	v_mad_u64_u32 v[2:3], s[2:3], s2, v5, v[2:3]
	s_add_u32 s12, s12, 8
	v_add3_u32 v3, v6, v3, v1
	s_addc_u32 s13, s13, 0
	v_mov_b64_e32 v[6:7], s[6:7]
	s_add_u32 s16, s16, 8
	v_cmp_ge_u64_e32 vcc, s[14:15], v[6:7]
	s_addc_u32 s17, s17, 0
	s_cbranch_vccnz .LBB0_9
; %bb.7:                                ;   in Loop: Header=BB0_2 Depth=1
	v_mov_b64_e32 v[6:7], v[8:9]
	s_branch .LBB0_2
.LBB0_8:
	v_mov_b64_e32 v[8:9], v[6:7]
.LBB0_9:
	s_lshl_b64 s[2:3], s[6:7], 3
	s_add_u32 s2, s10, s2
	s_addc_u32 s3, s11, s3
	s_load_dwordx2 s[6:7], s[2:3], 0x0
	s_load_dwordx2 s[10:11], s[0:1], 0x20
	s_mov_b32 s2, 0x2e8ba2f
                                        ; implicit-def: $vgpr18
                                        ; implicit-def: $vgpr16
                                        ; implicit-def: $vgpr14
                                        ; implicit-def: $vgpr12
	s_waitcnt lgkmcnt(0)
	v_mul_lo_u32 v1, s6, v9
	v_mul_lo_u32 v4, s7, v8
	v_mad_u64_u32 v[2:3], s[0:1], s6, v8, v[2:3]
	v_add3_u32 v3, v4, v3, v1
	v_mul_hi_u32 v1, v0, s2
	v_cmp_gt_u64_e64 s[0:1], s[10:11], v[8:9]
	v_mul_u32_u24_e32 v1, 0x58, v1
	v_mov_b64_e32 v[8:9], 0
	v_sub_u32_e32 v0, v0, v1
	v_lshl_add_u64 v[2:3], v[2:3], 3, s[8:9]
	v_mov_b64_e32 v[10:11], v[8:9]
	v_mov_b64_e32 v[4:5], v[8:9]
	;; [unrolled: 1-line block ×3, first 2 shown]
	s_and_saveexec_b64 s[2:3], s[0:1]
	s_cbranch_execz .LBB0_11
; %bb.10:
	v_mov_b32_e32 v1, 0
	v_lshl_add_u64 v[22:23], v[0:1], 3, v[2:3]
	v_add_co_u32_e32 v24, vcc, 0x1000, v22
	s_nop 1
	v_addc_co_u32_e32 v25, vcc, 0, v23, vcc
	global_load_dwordx2 v[8:9], v[22:23], off
	global_load_dwordx2 v[10:11], v[22:23], off offset:704
	global_load_dwordx2 v[4:5], v[22:23], off offset:1408
	;; [unrolled: 1-line block ×7, first 2 shown]
.LBB0_11:
	s_or_b64 exec, exec, s[2:3]
	v_and_b32_e32 v1, 1, v20
	v_mov_b32_e32 v20, 0x2c0
	v_cmp_eq_u32_e32 vcc, 1, v1
	s_waitcnt vmcnt(3)
	v_sub_f32_e32 v19, v9, v19
	s_waitcnt vmcnt(2)
	v_sub_f32_e32 v17, v11, v17
	;; [unrolled: 2-line block ×3, first 2 shown]
	v_cndmask_b32_e32 v34, 0, v20, vcc
	v_sub_f32_e32 v21, v8, v18
	v_fma_f32 v18, v9, 2.0, -v19
	v_sub_f32_e32 v9, v10, v16
	v_fma_f32 v16, v11, 2.0, -v17
	;; [unrolled: 2-line block ×3, first 2 shown]
	s_waitcnt vmcnt(0)
	v_sub_f32_e32 v5, v6, v12
	v_fma_f32 v20, v8, 2.0, -v21
	v_fma_f32 v8, v10, 2.0, -v9
	;; [unrolled: 1-line block ×4, first 2 shown]
	v_lshl_add_u32 v6, v0, 3, 0
	v_lshlrev_b32_e32 v1, 2, v34
	v_lshlrev_b32_e32 v36, 2, v0
	v_add_u32_e32 v22, v6, v1
	v_add_u32_e32 v23, 0, v1
	;; [unrolled: 1-line block ×3, first 2 shown]
	v_sub_u32_e32 v35, v6, v36
	ds_write_b64 v22, v[20:21]
	v_add_u32_e32 v20, 0x58, v0
	v_lshl_add_u32 v24, v30, 3, v23
	v_add_u32_e32 v31, 0x108, v0
	v_add_u32_e32 v33, v35, v1
	v_sub_f32_e32 v13, v7, v13
	v_lshl_add_u32 v21, v20, 3, v23
	ds_write_b64 v24, v[10:11]
	v_lshl_add_u32 v10, v31, 3, v23
	v_add_u32_e32 v25, 0x400, v33
	v_add_u32_e32 v26, 0x600, v33
	v_fma_f32 v12, v7, 2.0, -v13
	ds_write_b64 v21, v[8:9]
	ds_write_b64 v10, v[4:5]
	s_waitcnt lgkmcnt(0)
	s_barrier
	v_add_u32_e32 v32, v23, v36
	ds_read2_b32 v[4:5], v25 offset0:8 offset1:96
	ds_read2_b32 v[6:7], v33 offset0:88 offset1:176
	;; [unrolled: 1-line block ×3, first 2 shown]
	ds_read_b32 v27, v32
	ds_read_b32 v28, v33 offset:2464
	s_waitcnt lgkmcnt(0)
	s_barrier
	ds_write_b64 v22, v[18:19]
	ds_write_b64 v21, v[16:17]
	;; [unrolled: 1-line block ×4, first 2 shown]
	v_and_b32_e32 v18, 1, v0
	v_lshlrev_b32_e32 v10, 3, v18
	s_waitcnt lgkmcnt(0)
	s_barrier
	global_load_dwordx2 v[10:11], v10, s[4:5]
	v_lshlrev_b32_e32 v24, 1, v20
	ds_read2_b32 v[12:13], v25 offset0:8 offset1:96
	ds_read2_b32 v[14:15], v33 offset0:88 offset1:176
	;; [unrolled: 1-line block ×3, first 2 shown]
	ds_read_b32 v19, v32
	ds_read_b32 v20, v33 offset:2464
	v_lshlrev_b32_e32 v22, 1, v0
	s_movk_i32 s2, 0xfc
	v_lshlrev_b32_e32 v29, 1, v30
	s_waitcnt lgkmcnt(0)
	s_barrier
	v_lshlrev_b32_e32 v38, 1, v31
	s_movk_i32 s3, 0x1f0
	s_movk_i32 s6, 0x3f0
	v_cmp_gt_u32_e32 vcc, 64, v0
	s_waitcnt vmcnt(0)
	v_mul_f32_e32 v21, v13, v11
	v_mul_f32_e32 v37, v5, v11
	;; [unrolled: 1-line block ×8, first 2 shown]
	v_fmac_f32_e32 v21, v5, v10
	v_fma_f32 v5, v13, v10, -v37
	v_fmac_f32_e32 v39, v8, v10
	v_fma_f32 v8, v16, v10, -v40
	;; [unrolled: 2-line block ×4, first 2 shown]
	v_sub_f32_e32 v11, v27, v21
	v_and_or_b32 v21, v22, s2, v18
	v_sub_f32_e32 v13, v19, v5
	v_fma_f32 v5, v27, 2.0, -v11
	v_lshl_add_u32 v21, v21, 2, v23
	s_movk_i32 s2, 0x1fc
	v_sub_f32_e32 v17, v6, v39
	ds_write2_b32 v21, v5, v11 offset1:2
	v_and_or_b32 v5, v24, s2, v18
	s_movk_i32 s2, 0x3fc
	v_fma_f32 v6, v6, 2.0, -v17
	v_lshl_add_u32 v11, v5, 2, v23
	v_and_or_b32 v5, v29, s2, v18
	v_fma_f32 v16, v19, 2.0, -v13
	v_sub_f32_e32 v19, v14, v8
	v_sub_f32_e32 v8, v7, v41
	;; [unrolled: 1-line block ×4, first 2 shown]
	ds_write2_b32 v11, v6, v17 offset1:2
	v_lshl_add_u32 v17, v5, 2, v23
	v_and_or_b32 v5, v38, s2, v18
	v_fma_f32 v7, v7, 2.0, -v8
	v_sub_f32_e32 v10, v12, v10
	v_fma_f32 v4, v4, 2.0, -v9
	v_lshl_add_u32 v18, v5, 2, v23
	v_fma_f32 v14, v14, 2.0, -v19
	v_fma_f32 v15, v15, 2.0, -v20
	v_fma_f32 v12, v12, 2.0, -v10
	ds_write2_b32 v17, v7, v8 offset1:2
	ds_write2_b32 v18, v4, v9 offset1:2
	s_waitcnt lgkmcnt(0)
	s_barrier
	ds_read2_b32 v[4:5], v25 offset0:8 offset1:96
	ds_read2_b32 v[6:7], v33 offset0:88 offset1:176
	;; [unrolled: 1-line block ×3, first 2 shown]
	ds_read_b32 v27, v32
	ds_read_b32 v28, v33 offset:2464
	s_waitcnt lgkmcnt(0)
	s_barrier
	ds_write2_b32 v21, v16, v13 offset1:2
	ds_write2_b32 v11, v14, v19 offset1:2
	;; [unrolled: 1-line block ×4, first 2 shown]
	v_and_b32_e32 v18, 3, v0
	v_lshlrev_b32_e32 v10, 3, v18
	s_waitcnt lgkmcnt(0)
	s_barrier
	global_load_dwordx2 v[10:11], v10, s[4:5] offset:16
	ds_read2_b32 v[12:13], v25 offset0:8 offset1:96
	ds_read2_b32 v[14:15], v33 offset0:88 offset1:176
	;; [unrolled: 1-line block ×3, first 2 shown]
	ds_read_b32 v19, v32
	ds_read_b32 v20, v33 offset:2464
	s_movk_i32 s2, 0xf8
	s_waitcnt lgkmcnt(0)
	s_barrier
	s_waitcnt vmcnt(0)
	v_mul_f32_e32 v21, v13, v11
	v_mul_f32_e32 v37, v5, v11
	v_fmac_f32_e32 v21, v5, v10
	v_fma_f32 v5, v13, v10, -v37
	v_mul_f32_e32 v39, v16, v11
	v_mul_f32_e32 v40, v8, v11
	;; [unrolled: 1-line block ×6, first 2 shown]
	v_sub_f32_e32 v13, v19, v5
	v_fmac_f32_e32 v39, v8, v10
	v_fma_f32 v8, v16, v10, -v40
	v_fmac_f32_e32 v41, v9, v10
	v_fma_f32 v9, v17, v10, -v42
	;; [unrolled: 2-line block ×3, first 2 shown]
	v_sub_f32_e32 v11, v27, v21
	v_fma_f32 v20, v19, 2.0, -v13
	v_and_or_b32 v19, v22, s2, v18
	v_fma_f32 v17, v27, 2.0, -v11
	v_lshl_add_u32 v27, v19, 2, v23
	s_movk_i32 s2, 0x1f8
	v_sub_f32_e32 v5, v6, v39
	ds_write2_b32 v27, v17, v11 offset1:4
	v_and_or_b32 v11, v24, s2, v18
	v_fma_f32 v6, v6, 2.0, -v5
	v_lshl_add_u32 v11, v11, 2, v23
	s_movk_i32 s2, 0x3f8
	v_sub_f32_e32 v8, v14, v8
	v_sub_f32_e32 v16, v7, v41
	ds_write2_b32 v11, v6, v5 offset1:4
	v_and_or_b32 v5, v29, s2, v18
	v_fma_f32 v21, v14, 2.0, -v8
	v_fma_f32 v7, v7, 2.0, -v16
	v_sub_f32_e32 v14, v4, v43
	v_lshl_add_u32 v17, v5, 2, v23
	v_and_or_b32 v5, v38, s2, v18
	v_sub_f32_e32 v9, v15, v9
	v_sub_f32_e32 v10, v12, v10
	v_fma_f32 v4, v4, 2.0, -v14
	ds_write2_b32 v17, v7, v16 offset1:4
	v_lshl_add_u32 v16, v5, 2, v23
	v_fma_f32 v15, v15, 2.0, -v9
	v_fma_f32 v12, v12, 2.0, -v10
	ds_write2_b32 v16, v4, v14 offset1:4
	s_waitcnt lgkmcnt(0)
	s_barrier
	ds_read2_b32 v[4:5], v25 offset0:8 offset1:96
	ds_read2_b32 v[6:7], v33 offset0:88 offset1:176
	;; [unrolled: 1-line block ×3, first 2 shown]
	ds_read_b32 v14, v32
	ds_read_b32 v37, v33 offset:2464
	s_waitcnt lgkmcnt(0)
	s_barrier
	ds_write2_b32 v27, v20, v13 offset1:4
	ds_write2_b32 v11, v21, v8 offset1:4
	;; [unrolled: 1-line block ×4, first 2 shown]
	v_and_b32_e32 v8, 7, v0
	v_lshlrev_b32_e32 v9, 3, v8
	s_waitcnt lgkmcnt(0)
	s_barrier
	global_load_dwordx2 v[20:21], v9, s[4:5] offset:48
	s_movk_i32 s2, 0xf0
	v_and_or_b32 v9, v22, s2, v8
	v_and_or_b32 v10, v24, s3, v8
	;; [unrolled: 1-line block ×4, first 2 shown]
	v_lshl_add_u32 v40, v9, 2, v23
	v_lshl_add_u32 v41, v10, 2, v23
	;; [unrolled: 1-line block ×4, first 2 shown]
	ds_read2_b32 v[22:23], v25 offset0:8 offset1:96
	ds_read2_b32 v[24:25], v33 offset0:88 offset1:176
	;; [unrolled: 1-line block ×3, first 2 shown]
	ds_read_b32 v27, v32
	ds_read_b32 v26, v33 offset:2464
	v_add_f32_e32 v15, v6, v6
	v_mov_b32_e32 v8, v6
	v_add_f32_e32 v13, v4, v4
	v_mov_b32_e32 v12, v7
	v_add_f32_e32 v9, v7, v7
	s_waitcnt lgkmcnt(0)
	s_barrier
	s_waitcnt vmcnt(0)
	v_mul_f32_e32 v6, v26, v21
	v_mul_f32_e32 v10, v29, v21
	v_fmac_f32_e32 v6, v37, v20
	v_fmac_f32_e32 v10, v19, v20
	v_sub_f32_e32 v11, v4, v6
	v_mul_f32_e32 v42, v28, v21
	v_pk_add_f32 v[6:7], v[12:13], v[10:11] neg_lo:[0,1] neg_hi:[0,1]
	v_fmac_f32_e32 v42, v18, v20
	v_mov_b32_e32 v43, v6
	v_mul_f32_e32 v16, v23, v21
	v_pk_add_f32 v[8:9], v[8:9], v[42:43] neg_lo:[0,1] neg_hi:[0,1]
	v_fmac_f32_e32 v16, v5, v20
	v_mov_b32_e32 v17, v8
	v_pk_add_f32 v[12:13], v[14:15], v[16:17] neg_lo:[0,1] neg_hi:[0,1]
                                        ; implicit-def: $vgpr15
                                        ; implicit-def: $vgpr17
	s_nop 0
	v_fma_f32 v10, v14, 2.0, -v12
	ds_write2_b32 v40, v10, v12 offset1:8
	ds_write2_b32 v41, v13, v8 offset1:8
	;; [unrolled: 1-line block ×4, first 2 shown]
	s_waitcnt lgkmcnt(0)
	s_barrier
	s_and_saveexec_b64 s[2:3], vcc
	s_cbranch_execz .LBB0_13
; %bb.12:
	v_add3_u32 v4, 0, v36, v1
	ds_read_b32 v10, v32
	ds_read2st64_b32 v[12:13], v4 offset0:1 offset1:2
	ds_read2st64_b32 v[8:9], v4 offset0:3 offset1:4
	;; [unrolled: 1-line block ×5, first 2 shown]
	s_waitcnt lgkmcnt(1)
	v_mov_b32_e32 v11, v16
.LBB0_13:
	s_or_b64 exec, exec, s[2:3]
	v_mul_f32_e32 v4, v5, v21
	v_fma_f32 v5, v23, v20, -v4
	v_mul_f32_e32 v4, v18, v21
	v_fma_f32 v43, v28, v20, -v4
	;; [unrolled: 2-line block ×3, first 2 shown]
	v_mul_f32_e32 v26, v26, v20
	v_mul_f32_e32 v4, v37, v21
	v_add_f32_e32 v23, v27, v27
	v_pk_add_f32 v[28:29], v[26:27], v[4:5] neg_lo:[0,1] neg_hi:[0,1]
	v_add_f32_e32 v20, v25, v25
	v_pk_add_f32 v[4:5], v[22:23], v[28:29] neg_lo:[0,1] neg_hi:[0,1]
	v_add_f32_e32 v22, v22, v22
	v_mov_b32_e32 v23, v25
	v_mov_b32_e32 v18, v4
	v_pk_add_f32 v[18:19], v[22:23], v[18:19] neg_lo:[0,1] neg_hi:[0,1]
	v_mov_b32_e32 v21, v24
	v_mov_b32_e32 v42, v19
	v_pk_add_f32 v[22:23], v[20:21], v[42:43] neg_lo:[0,1] neg_hi:[0,1]
	s_waitcnt lgkmcnt(0)
	v_fma_f32 v21, v24, 2.0, -v23
	s_barrier
	ds_write2_b32 v40, v5, v29 offset1:8
	ds_write2_b32 v41, v21, v23 offset1:8
	;; [unrolled: 1-line block ×4, first 2 shown]
	s_waitcnt lgkmcnt(0)
	s_barrier
	s_waitcnt lgkmcnt(0)
                                        ; implicit-def: $vgpr27
                                        ; implicit-def: $vgpr25
	s_and_saveexec_b64 s[2:3], vcc
	s_cbranch_execz .LBB0_15
; %bb.14:
	v_add3_u32 v4, 0, v36, v1
	ds_read2st64_b32 v[22:23], v4 offset0:5 offset1:6
	ds_read2st64_b32 v[24:25], v4 offset0:7 offset1:8
	;; [unrolled: 1-line block ×4, first 2 shown]
	ds_read_b32 v5, v32
	ds_read2st64_b32 v[26:27], v4 offset0:9 offset1:10
	s_waitcnt lgkmcnt(4)
	v_mov_b32_e32 v4, v24
	v_mov_b32_e32 v18, v23
	v_mov_b32_e32 v19, v22
	s_waitcnt lgkmcnt(2)
	v_mov_b32_e32 v22, v29
	v_mov_b32_e32 v23, v28
	v_mov_b32_e32 v29, v20
.LBB0_15:
	s_or_b64 exec, exec, s[2:3]
	v_and_b32_e32 v16, 15, v0
	v_mul_u32_u24_e32 v20, 10, v16
	v_lshlrev_b32_e32 v20, 3, v20
	global_load_dwordx4 v[44:47], v20, s[4:5] offset:112
	global_load_dwordx4 v[48:51], v20, s[4:5] offset:128
	;; [unrolled: 1-line block ×5, first 2 shown]
	s_waitcnt lgkmcnt(0)
	s_barrier
	s_waitcnt vmcnt(4)
	v_mul_f32_e32 v41, v29, v45
	v_mul_f32_e32 v37, v12, v45
	;; [unrolled: 1-line block ×4, first 2 shown]
	s_waitcnt vmcnt(3)
	v_mul_f32_e32 v36, v23, v49
	v_mul_f32_e32 v45, v8, v49
	;; [unrolled: 1-line block ×4, first 2 shown]
	s_waitcnt vmcnt(2)
	v_mul_f32_e32 v20, v19, v53
	v_mul_f32_e32 v49, v6, v53
	;; [unrolled: 1-line block ×3, first 2 shown]
	v_fma_f32 v42, v29, v44, -v37
	v_mul_f32_e32 v51, v7, v55
	s_waitcnt vmcnt(1)
	v_mul_f32_e32 v29, v4, v57
	v_fmac_f32_e32 v41, v12, v44
	v_fmac_f32_e32 v38, v13, v46
	v_mul_f32_e32 v44, v11, v57
	v_mul_f32_e32 v37, v25, v59
	v_fma_f32 v39, v21, v46, -v39
	v_mul_f32_e32 v46, v17, v59
	s_waitcnt vmcnt(0)
	v_mul_f32_e32 v40, v26, v61
	v_mul_f32_e32 v53, v14, v61
	;; [unrolled: 1-line block ×4, first 2 shown]
	v_fmac_f32_e32 v36, v8, v48
	v_fma_f32 v23, v23, v48, -v45
	v_fmac_f32_e32 v28, v9, v50
	v_fma_f32 v21, v22, v50, -v47
	;; [unrolled: 2-line block ×8, first 2 shown]
	v_lshrrev_b32_e32 v4, 4, v0
	s_and_saveexec_b64 s[2:3], vcc
	s_cbranch_execz .LBB0_17
; %bb.16:
	v_sub_f32_e32 v7, v42, v26
	v_add_f32_e32 v6, v41, v43
	v_mul_f32_e32 v8, 0xbe903f40, v7
	s_mov_b32 s6, 0xbf75a155
	v_sub_f32_e32 v14, v39, v25
	v_fma_f32 v9, v6, s6, -v8
	v_add_f32_e32 v11, v38, v40
	v_mul_f32_e32 v15, 0x3f0a6770, v14
	s_mov_b32 s7, 0x3f575c64
	v_add_f32_e32 v9, v10, v9
	v_fma_f32 v17, v11, s7, -v15
	v_sub_f32_e32 v22, v23, v19
	v_add_f32_e32 v9, v17, v9
	v_add_f32_e32 v17, v36, v37
	v_mul_f32_e32 v27, 0xbf4178ce, v22
	s_mov_b32 s8, 0xbf27a4f4
	v_fma_f32 v44, v17, s8, -v27
	v_sub_f32_e32 v45, v21, v18
	v_fmac_f32_e32 v8, 0xbf75a155, v6
	v_add_f32_e32 v9, v44, v9
	v_add_f32_e32 v44, v28, v29
	v_mul_f32_e32 v46, 0x3f68dda4, v45
	s_mov_b32 s9, 0x3ed4b147
	v_add_f32_e32 v8, v10, v8
	v_fmac_f32_e32 v15, 0x3f575c64, v11
	v_fma_f32 v47, v44, s9, -v46
	v_sub_f32_e32 v48, v12, v13
	v_add_f32_e32 v8, v15, v8
	v_fmac_f32_e32 v27, 0xbf27a4f4, v17
	v_add_f32_e32 v9, v47, v9
	v_add_f32_e32 v47, v20, v24
	v_mul_f32_e32 v49, 0xbf7d64f0, v48
	s_mov_b32 s10, 0xbe11bafb
	v_add_f32_e32 v8, v27, v8
	v_fmac_f32_e32 v46, 0x3ed4b147, v44
	v_mul_f32_e32 v15, 0xbf4178ce, v7
	v_fma_f32 v50, v47, s10, -v49
	v_add_f32_e32 v8, v46, v8
	v_fmac_f32_e32 v49, 0xbe11bafb, v47
	v_fma_f32 v27, v6, s8, -v15
	v_mul_f32_e32 v46, 0x3f7d64f0, v14
	v_add_f32_e32 v8, v49, v8
	v_add_f32_e32 v27, v10, v27
	v_fma_f32 v49, v11, s10, -v46
	v_add_f32_e32 v27, v49, v27
	v_mul_f32_e32 v49, 0xbf0a6770, v22
	v_add_f32_e32 v9, v50, v9
	v_fma_f32 v50, v17, s7, -v49
	v_fmac_f32_e32 v15, 0xbf27a4f4, v6
	v_add_f32_e32 v27, v50, v27
	v_mul_f32_e32 v50, 0xbe903f40, v45
	v_add_f32_e32 v15, v10, v15
	v_fmac_f32_e32 v46, 0xbe11bafb, v11
	v_fma_f32 v51, v44, s6, -v50
	v_add_f32_e32 v15, v46, v15
	v_fmac_f32_e32 v49, 0x3f575c64, v17
	v_add_f32_e32 v27, v51, v27
	v_mul_f32_e32 v51, 0x3f68dda4, v48
	v_add_f32_e32 v15, v49, v15
	v_fmac_f32_e32 v50, 0xbf75a155, v44
	v_mul_f32_e32 v46, 0xbf7d64f0, v7
	v_fma_f32 v52, v47, s9, -v51
	v_add_f32_e32 v15, v50, v15
	v_fmac_f32_e32 v51, 0x3ed4b147, v47
	v_fma_f32 v49, v6, s10, -v46
	v_mul_f32_e32 v50, 0x3e903f40, v14
	v_add_f32_e32 v15, v51, v15
	v_add_f32_e32 v49, v10, v49
	v_fma_f32 v51, v11, s6, -v50
	v_add_f32_e32 v49, v51, v49
	v_mul_f32_e32 v51, 0x3f68dda4, v22
	v_add_f32_e32 v27, v52, v27
	v_fma_f32 v52, v17, s9, -v51
	v_fmac_f32_e32 v46, 0xbe11bafb, v6
	v_add_f32_e32 v49, v52, v49
	v_mul_f32_e32 v52, 0xbf0a6770, v45
	v_add_f32_e32 v46, v10, v46
	v_fmac_f32_e32 v50, 0xbf75a155, v11
	v_fma_f32 v53, v44, s7, -v52
	v_add_f32_e32 v46, v50, v46
	v_fmac_f32_e32 v51, 0x3ed4b147, v17
	v_add_f32_e32 v49, v53, v49
	v_mul_f32_e32 v53, 0xbf4178ce, v48
	v_add_f32_e32 v46, v51, v46
	v_fmac_f32_e32 v52, 0x3f575c64, v44
	v_mul_f32_e32 v50, 0xbf68dda4, v7
	v_fma_f32 v54, v47, s8, -v53
	v_add_f32_e32 v46, v52, v46
	v_fmac_f32_e32 v53, 0xbf27a4f4, v47
	v_fma_f32 v51, v6, s9, -v50
	v_mul_f32_e32 v52, 0xbf4178ce, v14
	v_fmac_f32_e32 v50, 0x3ed4b147, v6
	v_add_f32_e32 v46, v53, v46
	v_fma_f32 v53, v11, s8, -v52
	v_add_f32_e32 v50, v10, v50
	v_fmac_f32_e32 v52, 0xbf27a4f4, v11
	v_mul_f32_e32 v7, 0xbf0a6770, v7
	v_add_f32_e32 v50, v52, v50
	v_fma_f32 v52, v6, s7, -v7
	v_fmac_f32_e32 v7, 0x3f575c64, v6
	v_add_f32_e32 v6, v10, v7
	v_add_f32_e32 v7, v10, v41
	;; [unrolled: 1-line block ×6, first 2 shown]
	v_mul_f32_e32 v53, 0x3e903f40, v22
	v_add_f32_e32 v7, v7, v28
	v_add_f32_e32 v49, v54, v49
	v_fma_f32 v54, v17, s6, -v53
	v_fmac_f32_e32 v53, 0xbf75a155, v17
	v_mul_f32_e32 v14, 0xbf68dda4, v14
	v_add_f32_e32 v7, v7, v20
	v_add_f32_e32 v51, v54, v51
	v_mul_f32_e32 v54, 0x3f7d64f0, v45
	v_add_f32_e32 v50, v53, v50
	v_add_f32_e32 v52, v10, v52
	v_fma_f32 v53, v11, s9, -v14
	v_mul_f32_e32 v22, 0xbf7d64f0, v22
	v_fmac_f32_e32 v14, 0x3ed4b147, v11
	v_add_f32_e32 v7, v7, v24
	v_fma_f32 v55, v44, s10, -v54
	v_add_f32_e32 v52, v53, v52
	v_fma_f32 v53, v17, s10, -v22
	v_mul_f32_e32 v45, 0xbf4178ce, v45
	v_add_f32_e32 v6, v14, v6
	v_fmac_f32_e32 v22, 0xbe11bafb, v17
	v_add_f32_e32 v7, v7, v29
	v_mul_u32_u24_e32 v10, 0xb0, v4
	v_add_f32_e32 v51, v55, v51
	v_mul_f32_e32 v55, 0x3f0a6770, v48
	v_add_f32_e32 v52, v53, v52
	v_fma_f32 v53, v44, s8, -v45
	v_mul_f32_e32 v48, 0xbe903f40, v48
	v_add_f32_e32 v6, v22, v6
	v_fmac_f32_e32 v45, 0xbf27a4f4, v44
	v_add_f32_e32 v7, v7, v37
	v_or_b32_e32 v10, v10, v16
	v_fmac_f32_e32 v54, 0xbe11bafb, v44
	v_add_f32_e32 v52, v53, v52
	v_fma_f32 v53, v47, s6, -v48
	v_add_f32_e32 v6, v45, v6
	v_fmac_f32_e32 v48, 0xbf75a155, v47
	v_add_f32_e32 v7, v7, v40
	v_lshlrev_b32_e32 v10, 2, v10
	v_fma_f32 v56, v47, s7, -v55
	v_add_f32_e32 v50, v54, v50
	v_fmac_f32_e32 v55, 0x3f575c64, v47
	v_add_f32_e32 v6, v48, v6
	v_add_f32_e32 v7, v7, v43
	v_add3_u32 v10, 0, v10, v1
	v_add_f32_e32 v51, v56, v51
	v_add_f32_e32 v50, v55, v50
	v_add_f32_e32 v52, v53, v52
	ds_write2_b32 v10, v7, v6 offset1:16
	ds_write2_b32 v10, v50, v46 offset0:32 offset1:48
	ds_write2_b32 v10, v15, v8 offset0:64 offset1:80
	;; [unrolled: 1-line block ×4, first 2 shown]
	ds_write_b32 v10, v52 offset:640
.LBB0_17:
	s_or_b64 exec, exec, s[2:3]
	v_add_u32_e32 v14, 0x400, v33
	v_add_u32_e32 v17, 0x600, v33
	s_waitcnt lgkmcnt(0)
	s_barrier
	ds_read2_b32 v[6:7], v14 offset0:8 offset1:96
	ds_read2_b32 v[8:9], v33 offset0:88 offset1:176
	;; [unrolled: 1-line block ×3, first 2 shown]
	ds_read_b32 v15, v32
	ds_read_b32 v22, v33 offset:2464
	s_waitcnt lgkmcnt(0)
	s_barrier
	s_and_saveexec_b64 s[2:3], vcc
	s_cbranch_execz .LBB0_19
; %bb.18:
	v_add_f32_e32 v27, v5, v42
	v_add_f32_e32 v27, v27, v39
	v_add_f32_e32 v27, v27, v23
	v_add_f32_e32 v27, v27, v21
	v_add_f32_e32 v27, v27, v12
	v_add_f32_e32 v27, v27, v13
	v_add_f32_e32 v27, v27, v18
	v_add_f32_e32 v27, v27, v19
	v_add_f32_e32 v27, v27, v25
	v_add_f32_e32 v27, v27, v26
	v_add_f32_e32 v26, v42, v26
	v_sub_f32_e32 v41, v41, v43
	v_mul_f32_e32 v42, 0x3f575c64, v26
	v_mul_f32_e32 v44, 0x3ed4b147, v26
	;; [unrolled: 1-line block ×5, first 2 shown]
	v_fmamk_f32 v43, v41, 0x3f0a6770, v42
	v_fmac_f32_e32 v42, 0xbf0a6770, v41
	v_fmamk_f32 v45, v41, 0x3f68dda4, v44
	v_fmac_f32_e32 v44, 0xbf68dda4, v41
	;; [unrolled: 2-line block ×5, first 2 shown]
	v_add_f32_e32 v25, v39, v25
	v_add_f32_e32 v43, v5, v43
	;; [unrolled: 1-line block ×11, first 2 shown]
	v_sub_f32_e32 v26, v38, v40
	v_mul_f32_e32 v38, 0x3ed4b147, v25
	v_fmamk_f32 v39, v26, 0x3f68dda4, v38
	v_fmac_f32_e32 v38, 0xbf68dda4, v26
	v_mul_f32_e32 v40, 0xbf27a4f4, v25
	v_add_f32_e32 v38, v38, v42
	v_fmamk_f32 v41, v26, 0x3f4178ce, v40
	v_fmac_f32_e32 v40, 0xbf4178ce, v26
	v_mul_f32_e32 v42, 0xbf75a155, v25
	v_add_f32_e32 v39, v39, v43
	v_add_f32_e32 v40, v40, v44
	v_fmamk_f32 v43, v26, 0xbe903f40, v42
	v_fmac_f32_e32 v42, 0x3e903f40, v26
	v_mul_f32_e32 v44, 0xbe11bafb, v25
	v_mul_f32_e32 v25, 0x3f575c64, v25
	v_add_f32_e32 v42, v42, v46
	v_fmamk_f32 v46, v26, 0xbf0a6770, v25
	v_fmac_f32_e32 v25, 0x3f0a6770, v26
	v_add_f32_e32 v19, v23, v19
	v_add_f32_e32 v5, v25, v5
	v_sub_f32_e32 v23, v36, v37
	v_mul_f32_e32 v25, 0xbe11bafb, v19
	v_add_f32_e32 v41, v41, v45
	v_fmamk_f32 v45, v26, 0xbf7d64f0, v44
	v_fmac_f32_e32 v44, 0x3f7d64f0, v26
	v_fmamk_f32 v26, v23, 0x3f7d64f0, v25
	v_fmac_f32_e32 v25, 0xbf7d64f0, v23
	v_mul_f32_e32 v36, 0xbf75a155, v19
	v_add_f32_e32 v25, v25, v38
	v_fmamk_f32 v37, v23, 0xbe903f40, v36
	v_fmac_f32_e32 v36, 0x3e903f40, v23
	v_mul_f32_e32 v38, 0x3ed4b147, v19
	v_add_f32_e32 v26, v26, v39
	v_add_f32_e32 v36, v36, v40
	v_fmamk_f32 v39, v23, 0xbf68dda4, v38
	v_fmac_f32_e32 v38, 0x3f68dda4, v23
	v_mul_f32_e32 v40, 0x3f575c64, v19
	v_mul_f32_e32 v19, 0xbf27a4f4, v19
	v_add_f32_e32 v38, v38, v42
	v_fmamk_f32 v42, v23, 0x3f4178ce, v19
	v_fmac_f32_e32 v19, 0xbf4178ce, v23
	v_add_f32_e32 v18, v21, v18
	v_add_f32_e32 v5, v19, v5
	v_sub_f32_e32 v19, v28, v29
	v_mul_f32_e32 v21, 0xbf27a4f4, v18
	v_add_f32_e32 v37, v37, v41
	v_fmamk_f32 v41, v23, 0x3f0a6770, v40
	v_fmac_f32_e32 v40, 0xbf0a6770, v23
	v_fmamk_f32 v23, v19, 0x3f4178ce, v21
	v_fmac_f32_e32 v21, 0xbf4178ce, v19
	v_add_f32_e32 v21, v21, v25
	v_mul_f32_e32 v25, 0xbe11bafb, v18
	v_add_f32_e32 v23, v23, v26
	v_fmamk_f32 v26, v19, 0xbf7d64f0, v25
	v_fmac_f32_e32 v25, 0x3f7d64f0, v19
	v_mul_f32_e32 v28, 0x3f575c64, v18
	v_add_f32_e32 v25, v25, v36
	v_fmamk_f32 v29, v19, 0x3f0a6770, v28
	v_fmac_f32_e32 v28, 0xbf0a6770, v19
	v_mul_f32_e32 v36, 0xbf75a155, v18
	v_mul_f32_e32 v18, 0x3ed4b147, v18
	v_add_f32_e32 v28, v28, v38
	v_fmamk_f32 v38, v19, 0xbf68dda4, v18
	v_fmac_f32_e32 v18, 0x3f68dda4, v19
	v_add_f32_e32 v12, v12, v13
	v_add_f32_e32 v5, v18, v5
	v_sub_f32_e32 v13, v20, v24
	v_mul_f32_e32 v18, 0xbf75a155, v12
	v_add_f32_e32 v26, v26, v37
	v_fmamk_f32 v37, v19, 0x3e903f40, v36
	v_fmac_f32_e32 v36, 0xbe903f40, v19
	v_fmamk_f32 v19, v13, 0x3e903f40, v18
	v_fmac_f32_e32 v18, 0xbe903f40, v13
	v_mul_f32_e32 v20, 0x3f575c64, v12
	v_mul_u32_u24_e32 v4, 0xb0, v4
	v_add_f32_e32 v43, v43, v47
	v_add_f32_e32 v45, v45, v49
	;; [unrolled: 1-line block ×6, first 2 shown]
	v_fmamk_f32 v21, v13, 0xbf0a6770, v20
	v_fmac_f32_e32 v20, 0x3f0a6770, v13
	v_mul_f32_e32 v23, 0xbf27a4f4, v12
	v_or_b32_e32 v4, v4, v16
	v_add_f32_e32 v39, v39, v43
	v_add_f32_e32 v41, v41, v45
	;; [unrolled: 1-line block ×5, first 2 shown]
	v_fmamk_f32 v24, v13, 0x3f4178ce, v23
	v_fmac_f32_e32 v23, 0xbf4178ce, v13
	v_mul_f32_e32 v25, 0x3ed4b147, v12
	v_mul_f32_e32 v12, 0xbe11bafb, v12
	v_lshlrev_b32_e32 v4, 2, v4
	v_add_f32_e32 v29, v29, v39
	v_add_f32_e32 v37, v37, v41
	;; [unrolled: 1-line block ×6, first 2 shown]
	v_fmamk_f32 v26, v13, 0xbf68dda4, v25
	v_fmac_f32_e32 v25, 0x3f68dda4, v13
	v_fmamk_f32 v28, v13, 0x3f7d64f0, v12
	v_fmac_f32_e32 v12, 0xbf7d64f0, v13
	v_add3_u32 v1, 0, v4, v1
	v_add_f32_e32 v24, v24, v29
	v_add_f32_e32 v26, v26, v37
	v_add_f32_e32 v25, v25, v36
	v_add_f32_e32 v28, v28, v38
	v_add_f32_e32 v5, v12, v5
	ds_write2_b32 v1, v27, v19 offset1:16
	ds_write2_b32 v1, v21, v24 offset0:32 offset1:48
	ds_write2_b32 v1, v26, v28 offset0:64 offset1:80
	;; [unrolled: 1-line block ×4, first 2 shown]
	ds_write_b32 v1, v18 offset:640
.LBB0_19:
	s_or_b64 exec, exec, s[2:3]
	v_mov_b32_e32 v1, 0
	v_lshl_add_u64 v[4:5], v[0:1], 3, s[4:5]
	s_waitcnt lgkmcnt(0)
	s_barrier
	global_load_dwordx2 v[12:13], v[4:5], off offset:1392
	global_load_dwordx2 v[18:19], v[4:5], off offset:2096
	ds_read2_b32 v[20:21], v14 offset0:8 offset1:96
	ds_read2_b32 v[24:25], v33 offset0:88 offset1:176
	;; [unrolled: 1-line block ×3, first 2 shown]
	ds_read_b32 v23, v32
	ds_read_b32 v28, v33 offset:2464
	v_lshl_add_u32 v16, v34, 2, v35
	v_add_u32_e32 v29, 0x200, v33
	v_add_u32_e32 v34, 0x400, v16
	s_waitcnt lgkmcnt(0)
	s_barrier
	s_waitcnt vmcnt(1)
	v_mul_f32_e32 v35, v21, v13
	v_mul_f32_e32 v36, v7, v13
	s_waitcnt vmcnt(0)
	v_mul_f32_e32 v37, v26, v19
	v_mul_f32_e32 v40, v28, v19
	;; [unrolled: 1-line block ×6, first 2 shown]
	v_fmac_f32_e32 v35, v7, v12
	v_fma_f32 v7, v21, v12, -v36
	v_fmac_f32_e32 v37, v10, v18
	v_fmac_f32_e32 v40, v22, v18
	v_fma_f32 v10, v26, v18, -v38
	v_fmac_f32_e32 v39, v11, v12
	v_fma_f32 v11, v27, v12, -v13
	v_fma_f32 v12, v28, v18, -v19
	v_sub_f32_e32 v13, v15, v35
	v_sub_f32_e32 v18, v23, v7
	;; [unrolled: 1-line block ×7, first 2 shown]
	v_fma_f32 v12, v15, 2.0, -v13
	v_fma_f32 v8, v8, 2.0, -v7
	;; [unrolled: 1-line block ×4, first 2 shown]
	ds_write_b32 v33, v10 offset:2112
	ds_write_b32 v16, v21 offset:2464
	ds_write2_b32 v33, v12, v8 offset1:88
	ds_write2_b32 v29, v13, v9 offset0:48 offset1:224
	ds_write2_b32 v34, v7, v6 offset0:8 offset1:184
	s_waitcnt lgkmcnt(0)
	s_barrier
	ds_read2_b32 v[6:7], v14 offset0:8 offset1:96
	ds_read2_b32 v[14:15], v33 offset0:88 offset1:176
	;; [unrolled: 1-line block ×3, first 2 shown]
	ds_read_b32 v8, v32
	ds_read_b32 v10, v33 offset:2464
	v_sub_f32_e32 v11, v25, v11
	v_fma_f32 v23, v23, 2.0, -v18
	v_fma_f32 v24, v24, 2.0, -v19
	;; [unrolled: 1-line block ×4, first 2 shown]
	s_waitcnt lgkmcnt(0)
	s_barrier
	ds_write2_b32 v33, v23, v24 offset1:88
	ds_write2_b32 v29, v18, v25 offset0:48 offset1:224
	ds_write_b32 v33, v11 offset:2112
	ds_write2_b32 v34, v19, v20 offset0:8 offset1:184
	ds_write_b32 v16, v22 offset:2464
	s_waitcnt lgkmcnt(0)
	s_barrier
	s_and_saveexec_b64 s[2:3], s[0:1]
	s_cbranch_execz .LBB0_21
; %bb.20:
	global_load_dwordx2 v[16:17], v[4:5], off offset:2800
	global_load_dwordx2 v[18:19], v[4:5], off offset:3504
	s_movk_i32 s0, 0x1000
	v_add_co_u32_e32 v4, vcc, s0, v4
	v_add_u32_e32 v11, 0x400, v33
	s_nop 0
	v_addc_co_u32_e32 v5, vcc, 0, v5, vcc
	global_load_dwordx2 v[20:21], v[4:5], off offset:112
	global_load_dwordx2 v[22:23], v[4:5], off offset:816
	ds_read2_b32 v[4:5], v33 offset0:88 offset1:176
	v_add_u32_e32 v25, 0x600, v33
	ds_read_b32 v24, v33 offset:2464
	ds_read_b32 v9, v32
	ds_read2_b32 v[36:37], v11 offset0:8 offset1:96
	ds_read2_b32 v[38:39], v25 offset0:56 offset1:144
	s_mov_b32 s4, 0xba2e8ba3
	v_lshl_add_u64 v[2:3], v[0:1], 3, v[2:3]
	v_mul_hi_u32 v0, v30, s4
	v_mov_b32_e32 v26, v7
	v_mov_b32_e32 v28, v7
	v_mul_hi_u32 v7, v31, s4
	v_lshrrev_b32_e32 v0, 8, v0
	v_lshrrev_b32_e32 v7, 8, v7
	v_mul_u32_u24_e32 v0, 0x160, v0
	s_waitcnt lgkmcnt(1)
	v_mov_b32_e32 v42, v37
	v_lshl_add_u64 v[30:31], v[0:1], 3, v[2:3]
	v_mul_u32_u24_e32 v0, 0x160, v7
	s_waitcnt lgkmcnt(0)
	v_mov_b32_e32 v44, v39
	v_mov_b32_e32 v7, v36
	;; [unrolled: 1-line block ×7, first 2 shown]
	s_mov_b64 s[0:1], 0x580
	v_lshl_add_u64 v[0:1], v[0:1], 3, v[2:3]
	s_mov_b64 s[2:3], 0x840
	v_lshl_add_u64 v[40:41], v[30:31], 0, s[0:1]
	v_lshl_add_u64 v[46:47], v[0:1], 0, s[2:3]
	s_waitcnt vmcnt(3)
	v_pk_mul_f32 v[36:37], v[42:43], v[16:17] op_sel_hi:[0,1]
	s_waitcnt vmcnt(2)
	v_pk_mul_f32 v[38:39], v[38:39], v[18:19] op_sel_hi:[0,1]
	v_pk_fma_f32 v[26:27], v[26:27], v[16:17], v[36:37] op_sel:[0,0,1] op_sel_hi:[1,1,0]
	v_pk_fma_f32 v[16:17], v[28:29], v[16:17], v[36:37] op_sel:[0,0,1] op_sel_hi:[0,1,0] neg_lo:[1,0,0] neg_hi:[1,0,0]
	v_pk_fma_f32 v[28:29], v[12:13], v[18:19], v[38:39] op_sel:[0,0,1] op_sel_hi:[1,1,0]
	v_pk_fma_f32 v[12:13], v[12:13], v[18:19], v[38:39] op_sel:[0,0,1] op_sel_hi:[0,1,0] neg_lo:[1,0,0] neg_hi:[1,0,0]
	v_mov_b32_e32 v27, v17
	v_mov_b32_e32 v29, v13
	s_waitcnt vmcnt(1)
	v_pk_mul_f32 v[12:13], v[44:45], v[20:21] op_sel_hi:[0,1]
	s_waitcnt vmcnt(0)
	v_pk_mul_f32 v[16:17], v[24:25], v[22:23] op_sel_hi:[0,1]
	v_pk_add_f32 v[18:19], v[8:9], v[26:27] neg_lo:[0,1] neg_hi:[0,1]
	v_pk_fma_f32 v[14:15], v[14:15], v[20:21], v[12:13] op_sel:[0,0,1] op_sel_hi:[1,1,0]
	v_pk_fma_f32 v[12:13], v[34:35], v[20:21], v[12:13] op_sel:[0,0,1] op_sel_hi:[0,1,0] neg_lo:[1,0,0] neg_hi:[1,0,0]
	v_pk_add_f32 v[24:25], v[32:33], v[28:29] neg_lo:[0,1] neg_hi:[0,1]
	v_pk_fma_f32 v[20:21], v[10:11], v[22:23], v[16:17] op_sel:[0,0,1] op_sel_hi:[1,1,0]
	v_pk_fma_f32 v[10:11], v[10:11], v[22:23], v[16:17] op_sel:[0,0,1] op_sel_hi:[0,1,0] neg_lo:[1,0,0] neg_hi:[1,0,0]
	v_pk_fma_f32 v[8:9], v[8:9], 2.0, v[18:19] op_sel_hi:[1,0,1] neg_lo:[0,0,1] neg_hi:[0,0,1]
	v_mov_b32_e32 v15, v13
	global_store_dwordx2 v[2:3], v[18:19], off offset:2816
	v_pk_fma_f32 v[16:17], v[32:33], 2.0, v[24:25] op_sel_hi:[1,0,1] neg_lo:[0,0,1] neg_hi:[0,0,1]
	global_store_dwordx2 v[2:3], v[24:25], off offset:3520
	v_mov_b32_e32 v21, v11
	global_store_dwordx2 v[2:3], v[8:9], off
	global_store_dwordx2 v[2:3], v[16:17], off offset:704
	v_pk_add_f32 v[2:3], v[4:5], v[14:15] neg_lo:[0,1] neg_hi:[0,1]
	v_pk_add_f32 v[8:9], v[6:7], v[20:21] neg_lo:[0,1] neg_hi:[0,1]
	v_pk_fma_f32 v[4:5], v[4:5], 2.0, v[2:3] op_sel_hi:[1,0,1] neg_lo:[0,0,1] neg_hi:[0,0,1]
	global_store_dwordx2 v[40:41], v[2:3], off offset:2816
	v_pk_fma_f32 v[2:3], v[6:7], 2.0, v[8:9] op_sel_hi:[1,0,1] neg_lo:[0,0,1] neg_hi:[0,0,1]
	global_store_dwordx2 v[30:31], v[4:5], off offset:1408
	global_store_dwordx2 v[0:1], v[2:3], off offset:2112
	;; [unrolled: 1-line block ×3, first 2 shown]
.LBB0_21:
	s_endpgm
	.section	.rodata,"a",@progbits
	.p2align	6, 0x0
	.amdhsa_kernel fft_rtc_back_len704_factors_2_2_2_2_11_2_2_wgs_176_tpt_88_halfLds_sp_ip_CI_unitstride_sbrr_dirReg
		.amdhsa_group_segment_fixed_size 0
		.amdhsa_private_segment_fixed_size 0
		.amdhsa_kernarg_size 88
		.amdhsa_user_sgpr_count 2
		.amdhsa_user_sgpr_dispatch_ptr 0
		.amdhsa_user_sgpr_queue_ptr 0
		.amdhsa_user_sgpr_kernarg_segment_ptr 1
		.amdhsa_user_sgpr_dispatch_id 0
		.amdhsa_user_sgpr_kernarg_preload_length 0
		.amdhsa_user_sgpr_kernarg_preload_offset 0
		.amdhsa_user_sgpr_private_segment_size 0
		.amdhsa_uses_dynamic_stack 0
		.amdhsa_enable_private_segment 0
		.amdhsa_system_sgpr_workgroup_id_x 1
		.amdhsa_system_sgpr_workgroup_id_y 0
		.amdhsa_system_sgpr_workgroup_id_z 0
		.amdhsa_system_sgpr_workgroup_info 0
		.amdhsa_system_vgpr_workitem_id 0
		.amdhsa_next_free_vgpr 64
		.amdhsa_next_free_sgpr 22
		.amdhsa_accum_offset 64
		.amdhsa_reserve_vcc 1
		.amdhsa_float_round_mode_32 0
		.amdhsa_float_round_mode_16_64 0
		.amdhsa_float_denorm_mode_32 3
		.amdhsa_float_denorm_mode_16_64 3
		.amdhsa_dx10_clamp 1
		.amdhsa_ieee_mode 1
		.amdhsa_fp16_overflow 0
		.amdhsa_tg_split 0
		.amdhsa_exception_fp_ieee_invalid_op 0
		.amdhsa_exception_fp_denorm_src 0
		.amdhsa_exception_fp_ieee_div_zero 0
		.amdhsa_exception_fp_ieee_overflow 0
		.amdhsa_exception_fp_ieee_underflow 0
		.amdhsa_exception_fp_ieee_inexact 0
		.amdhsa_exception_int_div_zero 0
	.end_amdhsa_kernel
	.text
.Lfunc_end0:
	.size	fft_rtc_back_len704_factors_2_2_2_2_11_2_2_wgs_176_tpt_88_halfLds_sp_ip_CI_unitstride_sbrr_dirReg, .Lfunc_end0-fft_rtc_back_len704_factors_2_2_2_2_11_2_2_wgs_176_tpt_88_halfLds_sp_ip_CI_unitstride_sbrr_dirReg
                                        ; -- End function
	.section	.AMDGPU.csdata,"",@progbits
; Kernel info:
; codeLenInByte = 6504
; NumSgprs: 28
; NumVgprs: 64
; NumAgprs: 0
; TotalNumVgprs: 64
; ScratchSize: 0
; MemoryBound: 0
; FloatMode: 240
; IeeeMode: 1
; LDSByteSize: 0 bytes/workgroup (compile time only)
; SGPRBlocks: 3
; VGPRBlocks: 7
; NumSGPRsForWavesPerEU: 28
; NumVGPRsForWavesPerEU: 64
; AccumOffset: 64
; Occupancy: 8
; WaveLimiterHint : 1
; COMPUTE_PGM_RSRC2:SCRATCH_EN: 0
; COMPUTE_PGM_RSRC2:USER_SGPR: 2
; COMPUTE_PGM_RSRC2:TRAP_HANDLER: 0
; COMPUTE_PGM_RSRC2:TGID_X_EN: 1
; COMPUTE_PGM_RSRC2:TGID_Y_EN: 0
; COMPUTE_PGM_RSRC2:TGID_Z_EN: 0
; COMPUTE_PGM_RSRC2:TIDIG_COMP_CNT: 0
; COMPUTE_PGM_RSRC3_GFX90A:ACCUM_OFFSET: 15
; COMPUTE_PGM_RSRC3_GFX90A:TG_SPLIT: 0
	.text
	.p2alignl 6, 3212836864
	.fill 256, 4, 3212836864
	.type	__hip_cuid_c1acfbe8e9335694,@object ; @__hip_cuid_c1acfbe8e9335694
	.section	.bss,"aw",@nobits
	.globl	__hip_cuid_c1acfbe8e9335694
__hip_cuid_c1acfbe8e9335694:
	.byte	0                               ; 0x0
	.size	__hip_cuid_c1acfbe8e9335694, 1

	.ident	"AMD clang version 19.0.0git (https://github.com/RadeonOpenCompute/llvm-project roc-6.4.0 25133 c7fe45cf4b819c5991fe208aaa96edf142730f1d)"
	.section	".note.GNU-stack","",@progbits
	.addrsig
	.addrsig_sym __hip_cuid_c1acfbe8e9335694
	.amdgpu_metadata
---
amdhsa.kernels:
  - .agpr_count:     0
    .args:
      - .actual_access:  read_only
        .address_space:  global
        .offset:         0
        .size:           8
        .value_kind:     global_buffer
      - .offset:         8
        .size:           8
        .value_kind:     by_value
      - .actual_access:  read_only
        .address_space:  global
        .offset:         16
        .size:           8
        .value_kind:     global_buffer
      - .actual_access:  read_only
        .address_space:  global
        .offset:         24
        .size:           8
        .value_kind:     global_buffer
      - .offset:         32
        .size:           8
        .value_kind:     by_value
      - .actual_access:  read_only
        .address_space:  global
        .offset:         40
        .size:           8
        .value_kind:     global_buffer
      - .actual_access:  read_only
        .address_space:  global
        .offset:         48
        .size:           8
        .value_kind:     global_buffer
      - .offset:         56
        .size:           4
        .value_kind:     by_value
      - .actual_access:  read_only
        .address_space:  global
        .offset:         64
        .size:           8
        .value_kind:     global_buffer
      - .actual_access:  read_only
        .address_space:  global
        .offset:         72
        .size:           8
        .value_kind:     global_buffer
      - .address_space:  global
        .offset:         80
        .size:           8
        .value_kind:     global_buffer
    .group_segment_fixed_size: 0
    .kernarg_segment_align: 8
    .kernarg_segment_size: 88
    .language:       OpenCL C
    .language_version:
      - 2
      - 0
    .max_flat_workgroup_size: 176
    .name:           fft_rtc_back_len704_factors_2_2_2_2_11_2_2_wgs_176_tpt_88_halfLds_sp_ip_CI_unitstride_sbrr_dirReg
    .private_segment_fixed_size: 0
    .sgpr_count:     28
    .sgpr_spill_count: 0
    .symbol:         fft_rtc_back_len704_factors_2_2_2_2_11_2_2_wgs_176_tpt_88_halfLds_sp_ip_CI_unitstride_sbrr_dirReg.kd
    .uniform_work_group_size: 1
    .uses_dynamic_stack: false
    .vgpr_count:     64
    .vgpr_spill_count: 0
    .wavefront_size: 64
amdhsa.target:   amdgcn-amd-amdhsa--gfx950
amdhsa.version:
  - 1
  - 2
...

	.end_amdgpu_metadata
